;; amdgpu-corpus repo=ROCm/rocFFT kind=compiled arch=gfx906 opt=O3
	.text
	.amdgcn_target "amdgcn-amd-amdhsa--gfx906"
	.amdhsa_code_object_version 6
	.protected	fft_rtc_fwd_len1848_factors_3_11_7_4_2_wgs_231_tpt_231_halfLds_dp_ip_CI_unitstride_sbrr_C2R_dirReg ; -- Begin function fft_rtc_fwd_len1848_factors_3_11_7_4_2_wgs_231_tpt_231_halfLds_dp_ip_CI_unitstride_sbrr_C2R_dirReg
	.globl	fft_rtc_fwd_len1848_factors_3_11_7_4_2_wgs_231_tpt_231_halfLds_dp_ip_CI_unitstride_sbrr_C2R_dirReg
	.p2align	8
	.type	fft_rtc_fwd_len1848_factors_3_11_7_4_2_wgs_231_tpt_231_halfLds_dp_ip_CI_unitstride_sbrr_C2R_dirReg,@function
fft_rtc_fwd_len1848_factors_3_11_7_4_2_wgs_231_tpt_231_halfLds_dp_ip_CI_unitstride_sbrr_C2R_dirReg: ; @fft_rtc_fwd_len1848_factors_3_11_7_4_2_wgs_231_tpt_231_halfLds_dp_ip_CI_unitstride_sbrr_C2R_dirReg
; %bb.0:
	s_load_dwordx2 s[2:3], s[4:5], 0x50
	s_load_dwordx4 s[8:11], s[4:5], 0x0
	s_load_dwordx2 s[12:13], s[4:5], 0x18
	v_mul_u32_u24_e32 v1, 0x11c, v0
	v_add_u32_sdwa v5, s6, v1 dst_sel:DWORD dst_unused:UNUSED_PAD src0_sel:DWORD src1_sel:WORD_1
	v_mov_b32_e32 v3, 0
	s_waitcnt lgkmcnt(0)
	v_cmp_lt_u64_e64 s[0:1], s[10:11], 2
	v_mov_b32_e32 v1, 0
	v_mov_b32_e32 v6, v3
	s_and_b64 vcc, exec, s[0:1]
	v_mov_b32_e32 v2, 0
	s_cbranch_vccnz .LBB0_8
; %bb.1:
	s_load_dwordx2 s[0:1], s[4:5], 0x10
	s_add_u32 s6, s12, 8
	s_addc_u32 s7, s13, 0
	v_mov_b32_e32 v1, 0
	v_mov_b32_e32 v2, 0
	s_waitcnt lgkmcnt(0)
	s_add_u32 s14, s0, 8
	s_addc_u32 s15, s1, 0
	s_mov_b64 s[16:17], 1
.LBB0_2:                                ; =>This Inner Loop Header: Depth=1
	s_load_dwordx2 s[18:19], s[14:15], 0x0
                                        ; implicit-def: $vgpr7_vgpr8
	s_waitcnt lgkmcnt(0)
	v_or_b32_e32 v4, s19, v6
	v_cmp_ne_u64_e32 vcc, 0, v[3:4]
	s_and_saveexec_b64 s[0:1], vcc
	s_xor_b64 s[20:21], exec, s[0:1]
	s_cbranch_execz .LBB0_4
; %bb.3:                                ;   in Loop: Header=BB0_2 Depth=1
	v_cvt_f32_u32_e32 v4, s18
	v_cvt_f32_u32_e32 v7, s19
	s_sub_u32 s0, 0, s18
	s_subb_u32 s1, 0, s19
	v_mac_f32_e32 v4, 0x4f800000, v7
	v_rcp_f32_e32 v4, v4
	v_mul_f32_e32 v4, 0x5f7ffffc, v4
	v_mul_f32_e32 v7, 0x2f800000, v4
	v_trunc_f32_e32 v7, v7
	v_mac_f32_e32 v4, 0xcf800000, v7
	v_cvt_u32_f32_e32 v7, v7
	v_cvt_u32_f32_e32 v4, v4
	v_mul_lo_u32 v8, s0, v7
	v_mul_hi_u32 v9, s0, v4
	v_mul_lo_u32 v11, s1, v4
	v_mul_lo_u32 v10, s0, v4
	v_add_u32_e32 v8, v9, v8
	v_add_u32_e32 v8, v8, v11
	v_mul_hi_u32 v9, v4, v10
	v_mul_lo_u32 v11, v4, v8
	v_mul_hi_u32 v13, v4, v8
	v_mul_hi_u32 v12, v7, v10
	v_mul_lo_u32 v10, v7, v10
	v_mul_hi_u32 v14, v7, v8
	v_add_co_u32_e32 v9, vcc, v9, v11
	v_addc_co_u32_e32 v11, vcc, 0, v13, vcc
	v_mul_lo_u32 v8, v7, v8
	v_add_co_u32_e32 v9, vcc, v9, v10
	v_addc_co_u32_e32 v9, vcc, v11, v12, vcc
	v_addc_co_u32_e32 v10, vcc, 0, v14, vcc
	v_add_co_u32_e32 v8, vcc, v9, v8
	v_addc_co_u32_e32 v9, vcc, 0, v10, vcc
	v_add_co_u32_e32 v4, vcc, v4, v8
	v_addc_co_u32_e32 v7, vcc, v7, v9, vcc
	v_mul_lo_u32 v8, s0, v7
	v_mul_hi_u32 v9, s0, v4
	v_mul_lo_u32 v10, s1, v4
	v_mul_lo_u32 v11, s0, v4
	v_add_u32_e32 v8, v9, v8
	v_add_u32_e32 v8, v8, v10
	v_mul_lo_u32 v12, v4, v8
	v_mul_hi_u32 v13, v4, v11
	v_mul_hi_u32 v14, v4, v8
	;; [unrolled: 1-line block ×3, first 2 shown]
	v_mul_lo_u32 v11, v7, v11
	v_mul_hi_u32 v9, v7, v8
	v_add_co_u32_e32 v12, vcc, v13, v12
	v_addc_co_u32_e32 v13, vcc, 0, v14, vcc
	v_mul_lo_u32 v8, v7, v8
	v_add_co_u32_e32 v11, vcc, v12, v11
	v_addc_co_u32_e32 v10, vcc, v13, v10, vcc
	v_addc_co_u32_e32 v9, vcc, 0, v9, vcc
	v_add_co_u32_e32 v8, vcc, v10, v8
	v_addc_co_u32_e32 v9, vcc, 0, v9, vcc
	v_add_co_u32_e32 v4, vcc, v4, v8
	v_addc_co_u32_e32 v9, vcc, v7, v9, vcc
	v_mad_u64_u32 v[7:8], s[0:1], v5, v9, 0
	v_mul_hi_u32 v10, v5, v4
	v_add_co_u32_e32 v11, vcc, v10, v7
	v_addc_co_u32_e32 v12, vcc, 0, v8, vcc
	v_mad_u64_u32 v[7:8], s[0:1], v6, v4, 0
	v_mad_u64_u32 v[9:10], s[0:1], v6, v9, 0
	v_add_co_u32_e32 v4, vcc, v11, v7
	v_addc_co_u32_e32 v4, vcc, v12, v8, vcc
	v_addc_co_u32_e32 v7, vcc, 0, v10, vcc
	v_add_co_u32_e32 v4, vcc, v4, v9
	v_addc_co_u32_e32 v9, vcc, 0, v7, vcc
	v_mul_lo_u32 v10, s19, v4
	v_mul_lo_u32 v11, s18, v9
	v_mad_u64_u32 v[7:8], s[0:1], s18, v4, 0
	v_add3_u32 v8, v8, v11, v10
	v_sub_u32_e32 v10, v6, v8
	v_mov_b32_e32 v11, s19
	v_sub_co_u32_e32 v7, vcc, v5, v7
	v_subb_co_u32_e64 v10, s[0:1], v10, v11, vcc
	v_subrev_co_u32_e64 v11, s[0:1], s18, v7
	v_subbrev_co_u32_e64 v10, s[0:1], 0, v10, s[0:1]
	v_cmp_le_u32_e64 s[0:1], s19, v10
	v_cndmask_b32_e64 v12, 0, -1, s[0:1]
	v_cmp_le_u32_e64 s[0:1], s18, v11
	v_cndmask_b32_e64 v11, 0, -1, s[0:1]
	v_cmp_eq_u32_e64 s[0:1], s19, v10
	v_cndmask_b32_e64 v10, v12, v11, s[0:1]
	v_add_co_u32_e64 v11, s[0:1], 2, v4
	v_addc_co_u32_e64 v12, s[0:1], 0, v9, s[0:1]
	v_add_co_u32_e64 v13, s[0:1], 1, v4
	v_addc_co_u32_e64 v14, s[0:1], 0, v9, s[0:1]
	v_subb_co_u32_e32 v8, vcc, v6, v8, vcc
	v_cmp_ne_u32_e64 s[0:1], 0, v10
	v_cmp_le_u32_e32 vcc, s19, v8
	v_cndmask_b32_e64 v10, v14, v12, s[0:1]
	v_cndmask_b32_e64 v12, 0, -1, vcc
	v_cmp_le_u32_e32 vcc, s18, v7
	v_cndmask_b32_e64 v7, 0, -1, vcc
	v_cmp_eq_u32_e32 vcc, s19, v8
	v_cndmask_b32_e32 v7, v12, v7, vcc
	v_cmp_ne_u32_e32 vcc, 0, v7
	v_cndmask_b32_e64 v7, v13, v11, s[0:1]
	v_cndmask_b32_e32 v8, v9, v10, vcc
	v_cndmask_b32_e32 v7, v4, v7, vcc
.LBB0_4:                                ;   in Loop: Header=BB0_2 Depth=1
	s_andn2_saveexec_b64 s[0:1], s[20:21]
	s_cbranch_execz .LBB0_6
; %bb.5:                                ;   in Loop: Header=BB0_2 Depth=1
	v_cvt_f32_u32_e32 v4, s18
	s_sub_i32 s20, 0, s18
	v_rcp_iflag_f32_e32 v4, v4
	v_mul_f32_e32 v4, 0x4f7ffffe, v4
	v_cvt_u32_f32_e32 v4, v4
	v_mul_lo_u32 v7, s20, v4
	v_mul_hi_u32 v7, v4, v7
	v_add_u32_e32 v4, v4, v7
	v_mul_hi_u32 v4, v5, v4
	v_mul_lo_u32 v7, v4, s18
	v_add_u32_e32 v8, 1, v4
	v_sub_u32_e32 v7, v5, v7
	v_subrev_u32_e32 v9, s18, v7
	v_cmp_le_u32_e32 vcc, s18, v7
	v_cndmask_b32_e32 v7, v7, v9, vcc
	v_cndmask_b32_e32 v4, v4, v8, vcc
	v_add_u32_e32 v8, 1, v4
	v_cmp_le_u32_e32 vcc, s18, v7
	v_cndmask_b32_e32 v7, v4, v8, vcc
	v_mov_b32_e32 v8, v3
.LBB0_6:                                ;   in Loop: Header=BB0_2 Depth=1
	s_or_b64 exec, exec, s[0:1]
	v_mul_lo_u32 v4, v8, s18
	v_mul_lo_u32 v11, v7, s19
	v_mad_u64_u32 v[9:10], s[0:1], v7, s18, 0
	s_load_dwordx2 s[0:1], s[6:7], 0x0
	s_add_u32 s16, s16, 1
	v_add3_u32 v4, v10, v11, v4
	v_sub_co_u32_e32 v5, vcc, v5, v9
	v_subb_co_u32_e32 v4, vcc, v6, v4, vcc
	s_waitcnt lgkmcnt(0)
	v_mul_lo_u32 v4, s0, v4
	v_mul_lo_u32 v6, s1, v5
	v_mad_u64_u32 v[1:2], s[0:1], s0, v5, v[1:2]
	s_addc_u32 s17, s17, 0
	s_add_u32 s6, s6, 8
	v_add3_u32 v2, v6, v2, v4
	v_mov_b32_e32 v4, s10
	v_mov_b32_e32 v5, s11
	s_addc_u32 s7, s7, 0
	v_cmp_ge_u64_e32 vcc, s[16:17], v[4:5]
	s_add_u32 s14, s14, 8
	s_addc_u32 s15, s15, 0
	s_cbranch_vccnz .LBB0_9
; %bb.7:                                ;   in Loop: Header=BB0_2 Depth=1
	v_mov_b32_e32 v5, v7
	v_mov_b32_e32 v6, v8
	s_branch .LBB0_2
.LBB0_8:
	v_mov_b32_e32 v8, v6
	v_mov_b32_e32 v7, v5
.LBB0_9:
	s_lshl_b64 s[0:1], s[10:11], 3
	s_add_u32 s0, s12, s0
	s_addc_u32 s1, s13, s1
	s_load_dwordx2 s[6:7], s[0:1], 0x0
	s_load_dwordx2 s[10:11], s[4:5], 0x20
	s_waitcnt lgkmcnt(0)
	v_mad_u64_u32 v[1:2], s[0:1], s6, v7, v[1:2]
	s_mov_b32 s0, 0x11bb4a5
	v_mul_lo_u32 v3, s6, v8
	v_mul_lo_u32 v4, s7, v7
	v_mul_hi_u32 v5, v0, s0
	v_cmp_gt_u64_e64 s[0:1], s[10:11], v[7:8]
	v_add3_u32 v2, v4, v2, v3
	v_mul_u32_u24_e32 v3, 0xe7, v5
	v_sub_u32_e32 v4, v0, v3
	v_lshlrev_b64 v[56:57], 4, v[1:2]
	v_mov_b32_e32 v5, 0
	v_mov_b32_e32 v58, v4
	s_and_saveexec_b64 s[4:5], s[0:1]
	s_cbranch_execz .LBB0_13
; %bb.10:
	v_mov_b32_e32 v0, s3
	v_add_co_u32_e32 v3, vcc, s2, v56
	v_addc_co_u32_e32 v2, vcc, v0, v57, vcc
	v_lshlrev_b64 v[0:1], 4, v[4:5]
	s_movk_i32 s6, 0xe6
	v_add_co_u32_e32 v0, vcc, v3, v0
	v_addc_co_u32_e32 v1, vcc, v2, v1, vcc
	v_add_co_u32_e32 v22, vcc, 0x1000, v0
	v_addc_co_u32_e32 v23, vcc, 0, v1, vcc
	;; [unrolled: 2-line block ×6, first 2 shown]
	global_load_dwordx4 v[6:9], v[0:1], off
	global_load_dwordx4 v[10:13], v[0:1], off offset:3696
	v_add_co_u32_e32 v0, vcc, 0x6000, v0
	global_load_dwordx4 v[14:17], v[22:23], off offset:3296
	global_load_dwordx4 v[18:21], v[24:25], off offset:2896
	v_addc_co_u32_e32 v1, vcc, 0, v1, vcc
	global_load_dwordx4 v[22:25], v[38:39], off offset:2496
	global_load_dwordx4 v[26:29], v[40:41], off offset:2096
	;; [unrolled: 1-line block ×4, first 2 shown]
	v_lshl_add_u32 v0, v4, 4, 0
	v_cmp_eq_u32_e32 vcc, s6, v4
	s_waitcnt vmcnt(7)
	ds_write_b128 v0, v[6:9]
	s_waitcnt vmcnt(6)
	ds_write_b128 v0, v[10:13] offset:3696
	s_waitcnt vmcnt(5)
	ds_write_b128 v0, v[14:17] offset:7392
	;; [unrolled: 2-line block ×7, first 2 shown]
	v_mov_b32_e32 v0, v4
	v_mov_b32_e32 v1, v5
	s_and_saveexec_b64 s[6:7], vcc
	s_cbranch_execz .LBB0_12
; %bb.11:
	v_add_co_u32_e32 v0, vcc, 0x7000, v3
	v_addc_co_u32_e32 v1, vcc, 0, v2, vcc
	global_load_dwordx4 v[2:5], v[0:1], off offset:896
	v_mov_b32_e32 v6, 0
	v_mov_b32_e32 v0, 0xe6
	;; [unrolled: 1-line block ×3, first 2 shown]
	s_waitcnt vmcnt(0)
	ds_write_b128 v6, v[2:5] offset:29568
	v_mov_b32_e32 v4, 0xe6
.LBB0_12:
	s_or_b64 exec, exec, s[6:7]
	v_mov_b32_e32 v58, v4
	v_mov_b32_e32 v5, v1
	;; [unrolled: 1-line block ×3, first 2 shown]
.LBB0_13:
	s_or_b64 exec, exec, s[4:5]
	v_lshlrev_b32_e32 v0, 4, v58
	v_add_u32_e32 v188, 0, v0
	s_waitcnt lgkmcnt(0)
	s_barrier
	v_sub_u32_e32 v10, 0, v0
	ds_read_b64 v[6:7], v188
	ds_read_b64 v[8:9], v10 offset:29568
	s_add_u32 s6, s8, 0x7350
	v_lshlrev_b64 v[60:61], 4, v[4:5]
	s_addc_u32 s7, s9, 0
	v_cmp_ne_u32_e32 vcc, 0, v58
	s_waitcnt lgkmcnt(0)
	v_add_f64 v[0:1], v[6:7], v[8:9]
	v_add_f64 v[2:3], v[6:7], -v[8:9]
	s_and_saveexec_b64 s[4:5], vcc
	s_xor_b64 s[4:5], exec, s[4:5]
	s_cbranch_execz .LBB0_15
; %bb.14:
	v_mov_b32_e32 v1, s7
	v_add_co_u32_e32 v0, vcc, s6, v60
	v_addc_co_u32_e32 v1, vcc, v1, v61, vcc
	global_load_dwordx4 v[2:5], v[0:1], off
	ds_read_b64 v[0:1], v10 offset:29576
	ds_read_b64 v[11:12], v188 offset:8
	v_add_f64 v[13:14], v[6:7], v[8:9]
	v_add_f64 v[8:9], v[6:7], -v[8:9]
	s_waitcnt lgkmcnt(0)
	v_add_f64 v[15:16], v[0:1], v[11:12]
	v_add_f64 v[0:1], v[11:12], -v[0:1]
	s_waitcnt vmcnt(0)
	v_fma_f64 v[6:7], -v[8:9], v[4:5], v[13:14]
	v_fma_f64 v[11:12], v[15:16], v[4:5], -v[0:1]
	v_fma_f64 v[13:14], v[8:9], v[4:5], v[13:14]
	v_fma_f64 v[17:18], v[15:16], v[4:5], v[0:1]
	;; [unrolled: 1-line block ×4, first 2 shown]
	v_fma_f64 v[0:1], -v[15:16], v[2:3], v[13:14]
	v_fma_f64 v[2:3], v[8:9], v[2:3], v[17:18]
	ds_write_b128 v10, v[4:7] offset:29568
.LBB0_15:
	s_andn2_saveexec_b64 s[4:5], s[4:5]
	s_cbranch_execz .LBB0_17
; %bb.16:
	v_mov_b32_e32 v8, 0
	ds_read_b128 v[4:7], v8 offset:14784
	s_waitcnt lgkmcnt(0)
	v_add_f64 v[4:5], v[4:5], v[4:5]
	v_mul_f64 v[6:7], v[6:7], -2.0
	ds_write_b128 v8, v[4:7] offset:14784
.LBB0_17:
	s_or_b64 exec, exec, s[4:5]
	v_mov_b32_e32 v59, 0
	v_lshlrev_b64 v[62:63], 4, v[58:59]
	v_mov_b32_e32 v4, s7
	v_add_co_u32_e32 v8, vcc, s6, v62
	v_addc_co_u32_e32 v9, vcc, v4, v63, vcc
	global_load_dwordx4 v[4:7], v[8:9], off offset:3696
	s_movk_i32 s4, 0x1000
	v_add_co_u32_e32 v11, vcc, s4, v8
	v_addc_co_u32_e32 v12, vcc, 0, v9, vcc
	global_load_dwordx4 v[11:14], v[11:12], off offset:3296
	s_movk_i32 s4, 0x2000
	v_add_co_u32_e32 v8, vcc, s4, v8
	ds_write_b128 v188, v[0:3]
	v_addc_co_u32_e32 v9, vcc, 0, v9, vcc
	ds_read_b128 v[0:3], v188 offset:3696
	ds_read_b128 v[15:18], v10 offset:25872
	global_load_dwordx4 v[19:22], v[8:9], off offset:2896
	s_mov_b32 s4, 0xe8584caa
	s_mov_b32 s5, 0x3febb67a
	;; [unrolled: 1-line block ×3, first 2 shown]
	s_waitcnt lgkmcnt(0)
	v_add_f64 v[8:9], v[0:1], v[15:16]
	v_add_f64 v[23:24], v[17:18], v[2:3]
	v_add_f64 v[15:16], v[0:1], -v[15:16]
	v_add_f64 v[0:1], v[2:3], -v[17:18]
	s_mov_b32 s6, s4
	s_movk_i32 s10, 0x9a
	v_cmp_gt_u32_e32 vcc, s10, v58
	s_waitcnt vmcnt(2)
	v_fma_f64 v[2:3], v[15:16], v[6:7], v[8:9]
	v_fma_f64 v[17:18], v[23:24], v[6:7], v[0:1]
	v_fma_f64 v[8:9], -v[15:16], v[6:7], v[8:9]
	v_fma_f64 v[25:26], v[23:24], v[6:7], -v[0:1]
	v_fma_f64 v[0:1], -v[23:24], v[4:5], v[2:3]
	v_fma_f64 v[2:3], v[15:16], v[4:5], v[17:18]
	v_fma_f64 v[6:7], v[23:24], v[4:5], v[8:9]
	;; [unrolled: 1-line block ×3, first 2 shown]
	ds_write_b128 v188, v[0:3] offset:3696
	ds_write_b128 v10, v[6:9] offset:25872
	ds_read_b128 v[0:3], v188 offset:7392
	ds_read_b128 v[4:7], v10 offset:22176
	s_waitcnt lgkmcnt(0)
	v_add_f64 v[8:9], v[0:1], v[4:5]
	v_add_f64 v[15:16], v[6:7], v[2:3]
	v_add_f64 v[17:18], v[0:1], -v[4:5]
	v_add_f64 v[0:1], v[2:3], -v[6:7]
	s_waitcnt vmcnt(1)
	v_fma_f64 v[2:3], v[17:18], v[13:14], v[8:9]
	v_fma_f64 v[4:5], v[15:16], v[13:14], v[0:1]
	v_fma_f64 v[6:7], -v[17:18], v[13:14], v[8:9]
	v_fma_f64 v[8:9], v[15:16], v[13:14], -v[0:1]
	v_fma_f64 v[0:1], -v[15:16], v[11:12], v[2:3]
	v_fma_f64 v[2:3], v[17:18], v[11:12], v[4:5]
	v_fma_f64 v[4:5], v[15:16], v[11:12], v[6:7]
	;; [unrolled: 1-line block ×3, first 2 shown]
	ds_write_b128 v188, v[0:3] offset:7392
	ds_write_b128 v10, v[4:7] offset:22176
	ds_read_b128 v[0:3], v188 offset:11088
	ds_read_b128 v[4:7], v10 offset:18480
	s_waitcnt lgkmcnt(0)
	v_add_f64 v[8:9], v[0:1], v[4:5]
	v_add_f64 v[11:12], v[6:7], v[2:3]
	v_add_f64 v[13:14], v[0:1], -v[4:5]
	v_add_f64 v[0:1], v[2:3], -v[6:7]
	s_waitcnt vmcnt(0)
	v_fma_f64 v[2:3], v[13:14], v[21:22], v[8:9]
	v_fma_f64 v[4:5], v[11:12], v[21:22], v[0:1]
	v_fma_f64 v[6:7], -v[13:14], v[21:22], v[8:9]
	v_fma_f64 v[8:9], v[11:12], v[21:22], -v[0:1]
	v_fma_f64 v[0:1], -v[11:12], v[19:20], v[2:3]
	v_fma_f64 v[2:3], v[13:14], v[19:20], v[4:5]
	v_fma_f64 v[4:5], v[11:12], v[19:20], v[6:7]
	;; [unrolled: 1-line block ×3, first 2 shown]
	v_lshlrev_b32_e32 v8, 5, v58
	v_add_u32_e32 v36, v188, v8
	ds_write_b128 v188, v[0:3] offset:11088
	ds_write_b128 v10, v[4:7] offset:18480
	s_waitcnt lgkmcnt(0)
	s_barrier
	s_barrier
	ds_read_b128 v[4:7], v188
	ds_read_b128 v[12:15], v188 offset:3696
	ds_read_b128 v[0:3], v188 offset:9856
	;; [unrolled: 1-line block ×8, first 2 shown]
	s_waitcnt lgkmcnt(6)
	v_add_f64 v[37:38], v[4:5], v[0:1]
	v_add_f64 v[39:40], v[6:7], v[2:3]
	s_waitcnt lgkmcnt(4)
	v_add_f64 v[41:42], v[0:1], v[8:9]
	v_add_f64 v[45:46], v[2:3], v[10:11]
	s_waitcnt lgkmcnt(2)
	v_add_f64 v[49:50], v[12:13], v[24:25]
	v_add_f64 v[51:52], v[14:15], v[26:27]
	v_add_f64 v[53:54], v[24:25], v[20:21]
	v_add_f64 v[64:65], v[26:27], -v[22:23]
	v_add_f64 v[26:27], v[26:27], v[22:23]
	v_add_f64 v[66:67], v[24:25], -v[20:21]
	s_waitcnt lgkmcnt(1)
	v_add_f64 v[24:25], v[16:17], v[28:29]
	v_add_f64 v[68:69], v[18:19], v[30:31]
	s_waitcnt lgkmcnt(0)
	v_add_f64 v[70:71], v[28:29], v[32:33]
	v_add_f64 v[72:73], v[30:31], -v[34:35]
	v_add_f64 v[30:31], v[30:31], v[34:35]
	v_add_f64 v[43:44], v[2:3], -v[10:11]
	v_add_f64 v[47:48], v[0:1], -v[8:9]
	;; [unrolled: 1-line block ×3, first 2 shown]
	v_add_f64 v[0:1], v[37:38], v[8:9]
	v_add_f64 v[2:3], v[39:40], v[10:11]
	;; [unrolled: 1-line block ×4, first 2 shown]
	v_fma_f64 v[28:29], v[41:42], -0.5, v[4:5]
	v_add_f64 v[20:21], v[24:25], v[32:33]
	v_fma_f64 v[24:25], v[45:46], -0.5, v[6:7]
	v_add_f64 v[22:23], v[68:69], v[34:35]
	v_fma_f64 v[32:33], v[53:54], -0.5, v[12:13]
	v_fma_f64 v[26:27], v[26:27], -0.5, v[14:15]
	;; [unrolled: 1-line block ×4, first 2 shown]
	v_fma_f64 v[4:5], v[43:44], s[4:5], v[28:29]
	v_fma_f64 v[12:13], v[43:44], s[6:7], v[28:29]
	;; [unrolled: 1-line block ×12, first 2 shown]
	s_barrier
	ds_write_b128 v36, v[0:3]
	ds_write_b128 v36, v[8:11] offset:11088
	ds_write_b128 v36, v[4:7] offset:16
	;; [unrolled: 1-line block ×5, first 2 shown]
	s_and_saveexec_b64 s[4:5], vcc
	s_cbranch_execz .LBB0_19
; %bb.18:
	ds_write_b128 v36, v[20:23] offset:22176
	ds_write_b128 v36, v[28:31] offset:22192
	;; [unrolled: 1-line block ×3, first 2 shown]
.LBB0_19:
	s_or_b64 exec, exec, s[4:5]
	s_movk_i32 s4, 0xa8
	v_cmp_gt_u32_e32 vcc, s4, v58
	s_waitcnt lgkmcnt(0)
	s_barrier
	s_waitcnt lgkmcnt(0)
                                        ; implicit-def: $vgpr42_vgpr43
                                        ; implicit-def: $vgpr38_vgpr39
	s_and_saveexec_b64 s[4:5], vcc
	s_cbranch_execz .LBB0_21
; %bb.20:
	ds_read_b128 v[0:3], v188
	ds_read_b128 v[4:7], v188 offset:2688
	ds_read_b128 v[12:15], v188 offset:5376
	;; [unrolled: 1-line block ×10, first 2 shown]
.LBB0_21:
	s_or_b64 exec, exec, s[4:5]
	s_movk_i32 s4, 0xab
	v_mul_lo_u16_sdwa v44, v58, s4 dst_sel:DWORD dst_unused:UNUSED_PAD src0_sel:BYTE_0 src1_sel:DWORD
	v_lshrrev_b16_e32 v59, 9, v44
	v_mul_lo_u16_e32 v44, 3, v59
	v_sub_u16_e32 v189, v58, v44
	v_mov_b32_e32 v44, 10
	v_mul_u32_u24_sdwa v44, v189, v44 dst_sel:DWORD dst_unused:UNUSED_PAD src0_sel:BYTE_0 src1_sel:DWORD
	v_lshlrev_b32_e32 v64, 4, v44
	global_load_dwordx4 v[44:47], v64, s[8:9]
	global_load_dwordx4 v[48:51], v64, s[8:9] offset:16
	global_load_dwordx4 v[52:55], v64, s[8:9] offset:32
	;; [unrolled: 1-line block ×9, first 2 shown]
	s_mov_b32 s14, 0xf8bb580b
	s_mov_b32 s15, 0xbfe14ced
	s_mov_b32 s4, 0x8764f0ba
	s_mov_b32 s18, 0x8eee2c13
	s_mov_b32 s5, 0x3feaeb8c
	s_mov_b32 s19, 0xbfed1bb4
	s_mov_b32 s6, 0xd9c712b6
	s_mov_b32 s12, 0x43842ef
	s_mov_b32 s20, 0xbb3a28a1
	s_mov_b32 s7, 0x3fda9628
	s_mov_b32 s13, 0xbfefac9e
	s_mov_b32 s21, 0xbfe82f19
	s_mov_b32 s10, 0x640f44db
	s_mov_b32 s16, 0x7f775887
	s_mov_b32 s26, 0xfd768dbf
	s_mov_b32 s11, 0xbfc2375f
	s_mov_b32 s17, 0xbfe4f49e
	s_mov_b32 s27, 0x3fd207e7
	s_mov_b32 s30, 0x9bcd5057
	s_mov_b32 s31, 0xbfeeb42a
	s_mov_b32 s29, 0x3fefac9e
	s_mov_b32 s28, s12
	s_mov_b32 s35, 0x3fed1bb4
	s_mov_b32 s34, s18
	s_mov_b32 s23, 0xbfd207e7
	s_mov_b32 s22, s26
	s_mov_b32 s37, 0x3fe14ced
	s_mov_b32 s36, s14
	s_waitcnt vmcnt(0) lgkmcnt(0)
	s_barrier
	v_mul_f64 v[64:65], v[6:7], v[46:47]
	v_mul_f64 v[46:47], v[4:5], v[46:47]
	;; [unrolled: 1-line block ×14, first 2 shown]
	v_fma_f64 v[74:75], v[4:5], v[44:45], -v[64:65]
	v_fma_f64 v[90:91], v[6:7], v[44:45], v[46:47]
	v_fma_f64 v[44:45], v[20:21], v[80:81], -v[108:109]
	v_fma_f64 v[20:21], v[40:41], v[92:93], -v[94:95]
	v_mul_f64 v[100:101], v[10:11], v[54:55]
	v_mul_f64 v[78:79], v[24:25], v[78:79]
	v_mul_f64 v[110:111], v[30:31], v[86:87]
	v_mul_f64 v[86:87], v[28:29], v[86:87]
	v_mul_f64 v[98:99], v[36:37], v[98:99]
	v_fma_f64 v[68:69], v[12:13], v[48:49], -v[66:67]
	v_fma_f64 v[70:71], v[14:15], v[48:49], v[50:51]
	v_fma_f64 v[48:49], v[24:25], v[76:77], -v[106:107]
	v_fma_f64 v[46:47], v[22:23], v[80:81], v[82:83]
	v_fma_f64 v[22:23], v[42:43], v[92:93], v[116:117]
	v_fma_f64 v[24:25], v[36:37], v[96:97], -v[118:119]
	v_add_f64 v[152:153], v[74:75], -v[20:21]
	v_mul_f64 v[54:55], v[8:9], v[54:55]
	v_fma_f64 v[64:65], v[8:9], v[52:53], -v[100:101]
	v_fma_f64 v[50:51], v[26:27], v[76:77], v[78:79]
	v_fma_f64 v[40:41], v[28:29], v[84:85], -v[110:111]
	v_fma_f64 v[26:27], v[38:39], v[96:97], v[98:99]
	v_fma_f64 v[36:37], v[30:31], v[84:85], v[86:87]
	v_fma_f64 v[28:29], v[32:33], v[88:89], -v[112:113]
	v_fma_f64 v[30:31], v[34:35], v[88:89], v[114:115]
	v_add_f64 v[162:163], v[90:91], -v[22:23]
	v_add_f64 v[178:179], v[90:91], v[22:23]
	v_add_f64 v[150:151], v[68:69], -v[24:25]
	v_mul_f64 v[88:89], v[152:153], s[14:15]
	v_fma_f64 v[66:67], v[10:11], v[52:53], v[54:55]
	v_fma_f64 v[52:53], v[16:17], v[72:73], -v[102:103]
	v_add_f64 v[138:139], v[74:75], v[20:21]
	v_add_f64 v[160:161], v[70:71], -v[26:27]
	v_add_f64 v[164:165], v[70:71], v[26:27]
	v_add_f64 v[146:147], v[64:65], -v[28:29]
	v_mul_f64 v[82:83], v[150:151], s[18:19]
	v_mul_f64 v[92:93], v[162:163], s[18:19]
	;; [unrolled: 1-line block ×3, first 2 shown]
	v_fma_f64 v[6:7], v[178:179], s[4:5], -v[88:89]
	v_fma_f64 v[54:55], v[18:19], v[72:73], v[104:105]
	v_add_f64 v[140:141], v[68:69], v[24:25]
	v_add_f64 v[158:159], v[66:67], -v[30:31]
	v_add_f64 v[154:155], v[66:67], v[30:31]
	v_add_f64 v[120:121], v[52:53], -v[40:41]
	v_mul_f64 v[76:77], v[146:147], s[12:13]
	v_mul_f64 v[94:95], v[160:161], s[20:21]
	;; [unrolled: 1-line block ×3, first 2 shown]
	v_fma_f64 v[10:11], v[164:165], s[6:7], -v[82:83]
	v_fma_f64 v[12:13], v[138:139], s[6:7], v[92:93]
	v_fma_f64 v[14:15], v[178:179], s[6:7], -v[110:111]
	v_add_f64 v[6:7], v[2:3], v[6:7]
	v_add_f64 v[122:123], v[64:65], v[28:29]
	v_add_f64 v[156:157], v[54:55], -v[36:37]
	v_add_f64 v[148:149], v[54:55], v[36:37]
	v_mul_f64 v[42:43], v[120:121], s[20:21]
	v_mul_f64 v[86:87], v[158:159], s[26:27]
	;; [unrolled: 1-line block ×3, first 2 shown]
	v_fma_f64 v[18:19], v[154:155], s[10:11], -v[76:77]
	v_fma_f64 v[102:103], v[140:141], s[16:17], v[94:95]
	v_fma_f64 v[104:105], v[164:165], s[16:17], -v[100:101]
	v_add_f64 v[12:13], v[0:1], v[12:13]
	v_add_f64 v[14:15], v[2:3], v[14:15]
	;; [unrolled: 1-line block ×4, first 2 shown]
	v_mul_f64 v[80:81], v[162:163], s[14:15]
	v_mul_f64 v[84:85], v[156:157], s[28:29]
	v_fma_f64 v[10:11], v[148:149], s[16:17], -v[42:43]
	v_fma_f64 v[108:109], v[122:123], s[30:31], v[86:87]
	v_fma_f64 v[114:115], v[154:155], s[30:31], -v[98:99]
	v_add_f64 v[12:13], v[102:103], v[12:13]
	v_add_f64 v[14:15], v[104:105], v[14:15]
	;; [unrolled: 1-line block ×3, first 2 shown]
	v_mul_f64 v[106:107], v[162:163], s[12:13]
	v_mul_f64 v[142:143], v[152:153], s[12:13]
	;; [unrolled: 1-line block ×3, first 2 shown]
	v_fma_f64 v[4:5], v[138:139], s[4:5], v[80:81]
	v_fma_f64 v[124:125], v[116:117], s[10:11], v[84:85]
	v_add_f64 v[12:13], v[108:109], v[12:13]
	v_add_f64 v[14:15], v[114:115], v[14:15]
	;; [unrolled: 1-line block ×3, first 2 shown]
	v_fma_f64 v[10:11], v[138:139], s[10:11], v[106:107]
	v_mul_f64 v[108:109], v[160:161], s[26:27]
	v_fma_f64 v[114:115], v[178:179], s[10:11], -v[142:143]
	v_mul_f64 v[144:145], v[150:151], s[26:27]
	v_mul_f64 v[168:169], v[162:163], s[20:21]
	v_mul_f64 v[186:187], v[152:153], s[20:21]
	v_mul_f64 v[72:73], v[158:159], s[12:13]
	v_fma_f64 v[8:9], v[140:141], s[6:7], v[78:79]
	v_add_f64 v[4:5], v[0:1], v[4:5]
	v_add_f64 v[12:13], v[124:125], v[12:13]
	;; [unrolled: 1-line block ×3, first 2 shown]
	v_fma_f64 v[124:125], v[140:141], s[30:31], v[108:109]
	v_add_f64 v[132:133], v[2:3], v[114:115]
	v_fma_f64 v[134:135], v[164:165], s[30:31], -v[144:145]
	v_mul_f64 v[130:131], v[146:147], s[34:35]
	v_fma_f64 v[136:137], v[138:139], s[16:17], v[168:169]
	v_mul_f64 v[172:173], v[160:161], s[28:29]
	v_fma_f64 v[166:167], v[178:179], s[16:17], -v[186:187]
	v_mul_f64 v[180:181], v[150:151], s[28:29]
	v_mul_f64 v[38:39], v[156:157], s[20:21]
	v_fma_f64 v[16:17], v[122:123], s[10:11], v[72:73]
	v_add_f64 v[4:5], v[8:9], v[4:5]
	v_mul_f64 v[114:115], v[158:159], s[34:35]
	v_add_f64 v[10:11], v[124:125], v[10:11]
	v_add_f64 v[124:125], v[134:135], v[132:133]
	v_fma_f64 v[134:135], v[154:155], s[6:7], -v[130:131]
	v_add_f64 v[136:137], v[0:1], v[136:137]
	v_fma_f64 v[170:171], v[140:141], s[10:11], v[172:173]
	v_add_f64 v[174:175], v[2:3], v[166:167]
	v_fma_f64 v[182:183], v[164:165], s[10:11], -v[180:181]
	v_mul_f64 v[166:167], v[158:159], s[14:15]
	v_mul_f64 v[176:177], v[146:147], s[14:15]
	v_add_f64 v[128:129], v[50:51], -v[46:47]
	v_add_f64 v[118:119], v[48:49], -v[44:45]
	v_mul_f64 v[96:97], v[120:121], s[28:29]
	v_fma_f64 v[8:9], v[116:117], s[16:17], v[38:39]
	v_add_f64 v[4:5], v[16:17], v[4:5]
	v_fma_f64 v[132:133], v[122:123], s[6:7], v[114:115]
	v_add_f64 v[192:193], v[134:135], v[124:125]
	v_mul_f64 v[124:125], v[156:157], s[14:15]
	v_mul_f64 v[134:135], v[120:121], s[14:15]
	v_add_f64 v[170:171], v[170:171], v[136:137]
	v_add_f64 v[184:185], v[182:183], v[174:175]
	v_fma_f64 v[194:195], v[122:123], s[4:5], v[166:167]
	v_fma_f64 v[196:197], v[154:155], s[4:5], -v[176:177]
	v_mul_f64 v[174:175], v[156:157], s[22:23]
	v_mul_f64 v[182:183], v[120:121], s[22:23]
	v_add_f64 v[112:113], v[48:49], v[44:45]
	v_add_f64 v[126:127], v[50:51], v[46:47]
	v_mul_f64 v[32:33], v[128:129], s[22:23]
	v_mul_f64 v[34:35], v[118:119], s[22:23]
	v_add_f64 v[4:5], v[8:9], v[4:5]
	v_fma_f64 v[8:9], v[148:149], s[10:11], -v[96:97]
	v_mul_f64 v[102:103], v[128:129], s[36:37]
	v_mul_f64 v[104:105], v[118:119], s[36:37]
	v_add_f64 v[10:11], v[132:133], v[10:11]
	v_fma_f64 v[198:199], v[116:117], s[4:5], v[124:125]
	v_fma_f64 v[200:201], v[148:149], s[4:5], -v[134:135]
	v_mul_f64 v[132:133], v[128:129], s[20:21]
	v_mul_f64 v[136:137], v[118:119], s[20:21]
	v_add_f64 v[194:195], v[194:195], v[170:171]
	v_add_f64 v[196:197], v[196:197], v[184:185]
	v_fma_f64 v[202:203], v[116:117], s[30:31], v[174:175]
	v_fma_f64 v[204:205], v[148:149], s[30:31], -v[182:183]
	v_mul_f64 v[170:171], v[128:129], s[34:35]
	v_mul_f64 v[184:185], v[118:119], s[34:35]
	v_fma_f64 v[16:17], v[112:113], s[30:31], v[32:33]
	v_fma_f64 v[18:19], v[126:127], s[30:31], -v[34:35]
	v_add_f64 v[8:9], v[8:9], v[14:15]
	v_fma_f64 v[14:15], v[112:113], s[4:5], v[102:103]
	v_fma_f64 v[190:191], v[126:127], s[4:5], -v[104:105]
	v_add_f64 v[10:11], v[198:199], v[10:11]
	v_add_f64 v[192:193], v[200:201], v[192:193]
	v_fma_f64 v[198:199], v[112:113], s[16:17], v[132:133]
	v_fma_f64 v[200:201], v[126:127], s[16:17], -v[136:137]
	v_add_f64 v[194:195], v[202:203], v[194:195]
	;; [unrolled: 4-line block ×3, first 2 shown]
	v_add_f64 v[18:19], v[18:19], v[6:7]
	v_add_f64 v[12:13], v[14:15], v[12:13]
	;; [unrolled: 1-line block ×7, first 2 shown]
	s_and_saveexec_b64 s[24:25], vcc
	s_cbranch_execz .LBB0_23
; %bb.22:
	v_mul_f64 v[192:193], v[178:179], s[4:5]
	v_mul_f64 v[196:197], v[178:179], s[6:7]
	;; [unrolled: 1-line block ×12, first 2 shown]
	v_fma_f64 v[228:229], v[152:153], s[26:27], v[178:179]
	v_fma_f64 v[232:233], v[138:139], s[30:31], v[162:163]
	v_mul_f64 v[238:239], v[154:155], s[16:17]
	v_mul_f64 v[158:159], v[158:159], s[20:21]
	;; [unrolled: 1-line block ×4, first 2 shown]
	v_fma_f64 v[240:241], v[150:151], s[14:15], v[164:165]
	v_fma_f64 v[242:243], v[140:141], s[4:5], v[160:161]
	v_add_f64 v[228:229], v[2:3], v[228:229]
	v_add_f64 v[232:233], v[0:1], v[232:233]
	s_mov_b32 s15, 0x3fe82f19
	s_mov_b32 s14, s20
	v_mul_f64 v[198:199], v[138:139], s[10:11]
	v_mul_f64 v[202:203], v[138:139], s[16:17]
	v_fma_f64 v[246:247], v[146:147], s[14:15], v[238:239]
	v_mul_f64 v[156:157], v[156:157], s[34:35]
	v_add_f64 v[228:229], v[240:241], v[228:229]
	v_fma_f64 v[240:241], v[122:123], s[16:17], v[158:159]
	v_add_f64 v[232:233], v[242:243], v[232:233]
	v_fma_f64 v[138:139], v[138:139], s[30:31], -v[162:163]
	v_add_f64 v[186:187], v[186:187], v[204:205]
	v_add_f64 v[90:91], v[2:3], v[90:91]
	;; [unrolled: 1-line block ×3, first 2 shown]
	v_mul_f64 v[206:207], v[140:141], s[6:7]
	v_mul_f64 v[210:211], v[140:141], s[16:17]
	;; [unrolled: 1-line block ×9, first 2 shown]
	v_add_f64 v[228:229], v[246:247], v[228:229]
	v_fma_f64 v[246:247], v[116:117], s[6:7], v[156:157]
	v_add_f64 v[232:233], v[240:241], v[232:233]
	v_fma_f64 v[140:141], v[140:141], s[4:5], -v[160:161]
	v_add_f64 v[138:139], v[0:1], v[138:139]
	v_add_f64 v[180:181], v[180:181], v[220:221]
	;; [unrolled: 1-line block ×3, first 2 shown]
	v_fma_f64 v[152:153], v[152:153], s[22:23], v[178:179]
	v_add_f64 v[70:71], v[90:91], v[70:71]
	v_add_f64 v[68:69], v[74:75], v[68:69]
	v_fma_f64 v[178:179], v[120:121], s[18:19], v[244:245]
	v_mul_f64 v[240:241], v[148:149], s[16:17]
	v_fma_f64 v[150:151], v[150:151], s[36:37], v[164:165]
	v_mul_f64 v[164:165], v[148:149], s[10:11]
	v_add_f64 v[232:233], v[246:247], v[232:233]
	v_mul_f64 v[246:247], v[148:149], s[4:5]
	v_mul_f64 v[148:149], v[148:149], s[30:31]
	;; [unrolled: 1-line block ×3, first 2 shown]
	v_fma_f64 v[158:159], v[122:123], s[16:17], -v[158:159]
	v_add_f64 v[138:139], v[140:141], v[138:139]
	v_add_f64 v[154:155], v[176:177], v[154:155]
	v_add_f64 v[176:177], v[180:181], v[186:187]
	v_add_f64 v[152:153], v[2:3], v[152:153]
	v_add_f64 v[168:169], v[202:203], -v[168:169]
	v_add_f64 v[66:67], v[70:71], v[66:67]
	v_add_f64 v[64:65], v[68:69], v[64:65]
	v_mul_f64 v[222:223], v[122:123], s[10:11]
	v_mul_f64 v[226:227], v[122:123], s[30:31]
	v_mul_f64 v[234:235], v[122:123], s[6:7]
	v_mul_f64 v[242:243], v[122:123], s[4:5]
	v_mul_f64 v[248:249], v[116:117], s[16:17]
	v_mul_f64 v[250:251], v[116:117], s[10:11]
	v_add_f64 v[178:179], v[178:179], v[228:229]
	v_mul_f64 v[228:229], v[116:117], s[4:5]
	v_fma_f64 v[146:147], v[146:147], s[20:21], v[238:239]
	v_mul_f64 v[238:239], v[116:117], s[30:31]
	v_mul_f64 v[162:163], v[126:127], s[30:31]
	;; [unrolled: 1-line block ×3, first 2 shown]
	v_fma_f64 v[122:123], v[118:119], s[28:29], v[160:161]
	v_add_f64 v[172:173], v[218:219], -v[172:173]
	v_mul_f64 v[218:219], v[126:127], s[16:17]
	v_mul_f64 v[128:129], v[128:129], s[12:13]
	;; [unrolled: 1-line block ×3, first 2 shown]
	v_fma_f64 v[116:117], v[116:117], s[6:7], -v[156:157]
	v_add_f64 v[138:139], v[158:159], v[138:139]
	v_add_f64 v[148:149], v[182:183], v[148:149]
	;; [unrolled: 1-line block ×7, first 2 shown]
	v_mul_f64 v[152:153], v[112:113], s[30:31]
	v_mul_f64 v[204:205], v[112:113], s[4:5]
	;; [unrolled: 1-line block ×4, first 2 shown]
	v_add_f64 v[122:123], v[122:123], v[178:179]
	v_fma_f64 v[178:179], v[112:113], s[10:11], v[128:129]
	v_fma_f64 v[112:113], v[112:113], s[10:11], -v[128:129]
	v_add_f64 v[116:117], v[116:117], v[138:139]
	v_add_f64 v[126:127], v[184:185], v[126:127]
	;; [unrolled: 1-line block ×5, first 2 shown]
	v_add_f64 v[150:151], v[242:243], -v[166:167]
	v_add_f64 v[156:157], v[172:173], v[168:169]
	v_add_f64 v[50:51], v[54:55], v[50:51]
	v_add_f64 v[48:49], v[52:53], v[48:49]
	v_add_f64 v[116:117], v[112:113], v[116:117]
	v_add_f64 v[88:89], v[88:89], v[192:193]
	v_add_f64 v[112:113], v[126:127], v[142:143]
	v_add_f64 v[126:127], v[110:111], v[196:197]
	v_add_f64 v[52:53], v[190:191], -v[80:81]
	v_add_f64 v[106:107], v[198:199], -v[106:107]
	v_add_f64 v[54:55], v[194:195], -v[92:93]
	v_add_f64 v[128:129], v[238:239], -v[174:175]
	v_add_f64 v[150:151], v[150:151], v[156:157]
	v_add_f64 v[46:47], v[50:51], v[46:47]
	;; [unrolled: 1-line block ×7, first 2 shown]
	v_add_f64 v[78:79], v[206:207], -v[78:79]
	v_add_f64 v[48:49], v[0:1], v[52:53]
	v_add_f64 v[100:101], v[100:101], v[212:213]
	;; [unrolled: 1-line block ×3, first 2 shown]
	v_add_f64 v[80:81], v[210:211], -v[94:95]
	v_add_f64 v[0:1], v[0:1], v[54:55]
	v_add_f64 v[140:141], v[140:141], -v[170:171]
	v_add_f64 v[128:129], v[128:129], v[150:151]
	v_add_f64 v[144:145], v[144:145], v[216:217]
	v_add_f64 v[90:91], v[214:215], -v[108:109]
	v_add_f64 v[36:37], v[46:47], v[36:37]
	v_add_f64 v[40:41], v[44:45], v[40:41]
	;; [unrolled: 1-line block ×4, first 2 shown]
	v_add_f64 v[54:55], v[222:223], -v[72:73]
	v_add_f64 v[44:45], v[78:79], v[48:49]
	v_add_f64 v[98:99], v[98:99], v[230:231]
	;; [unrolled: 1-line block ×3, first 2 shown]
	v_add_f64 v[50:51], v[226:227], -v[86:87]
	v_add_f64 v[0:1], v[80:81], v[0:1]
	v_add_f64 v[110:111], v[140:141], v[128:129]
	v_add_f64 v[128:129], v[130:131], v[236:237]
	v_add_f64 v[130:131], v[144:145], v[138:139]
	v_add_f64 v[70:71], v[234:235], -v[114:115]
	v_add_f64 v[90:91], v[90:91], v[106:107]
	v_add_f64 v[30:31], v[36:37], v[30:31]
	;; [unrolled: 1-line block ×5, first 2 shown]
	v_add_f64 v[38:39], v[248:249], -v[38:39]
	v_add_f64 v[36:37], v[54:55], v[44:45]
	v_add_f64 v[96:97], v[96:97], v[164:165]
	;; [unrolled: 1-line block ×3, first 2 shown]
	v_add_f64 v[46:47], v[250:251], -v[84:85]
	v_add_f64 v[0:1], v[50:51], v[0:1]
	v_add_f64 v[74:75], v[134:135], v[246:247]
	;; [unrolled: 1-line block ×3, first 2 shown]
	v_add_f64 v[66:67], v[228:229], -v[124:125]
	v_add_f64 v[70:71], v[70:71], v[90:91]
	v_fma_f64 v[120:121], v[120:121], s[34:35], v[244:245]
	v_add_f64 v[26:27], v[30:31], v[26:27]
	v_add_f64 v[30:31], v[28:29], v[24:25]
	v_add_f64 v[34:35], v[34:35], v[162:163]
	v_add_f64 v[42:43], v[42:43], v[2:3]
	v_add_f64 v[44:45], v[152:153], -v[32:33]
	v_add_f64 v[36:37], v[38:39], v[36:37]
	v_add_f64 v[90:91], v[104:105], v[202:203]
	;; [unrolled: 1-line block ×3, first 2 shown]
	v_add_f64 v[40:41], v[204:205], -v[102:103]
	v_add_f64 v[0:1], v[46:47], v[0:1]
	v_add_f64 v[68:69], v[136:137], v[218:219]
	;; [unrolled: 1-line block ×3, first 2 shown]
	v_add_f64 v[64:65], v[220:221], -v[132:133]
	v_add_f64 v[38:39], v[66:67], v[70:71]
	v_fma_f64 v[118:119], v[118:119], s[12:13], v[160:161]
	v_add_f64 v[146:147], v[120:121], v[146:147]
	v_add_f64 v[32:33], v[26:27], v[22:23]
	;; [unrolled: 1-line block ×10, first 2 shown]
	v_mov_b32_e32 v21, 4
	v_add_f64 v[120:121], v[178:179], v[232:233]
	v_mul_u32_u24_e32 v20, 0x210, v59
	v_lshlrev_b32_sdwa v21, v21, v189 dst_sel:DWORD dst_unused:UNUSED_PAD src0_sel:DWORD src1_sel:BYTE_0
	v_add3_u32 v20, 0, v20, v21
	ds_write_b128 v20, v[30:33]
	ds_write_b128 v20, v[26:29] offset:48
	ds_write_b128 v20, v[22:25] offset:96
	;; [unrolled: 1-line block ×10, first 2 shown]
.LBB0_23:
	s_or_b64 exec, exec, s[24:25]
	s_waitcnt lgkmcnt(0)
	s_barrier
	ds_read_b128 v[28:31], v188
	ds_read_b128 v[48:51], v188 offset:4224
	ds_read_b128 v[44:47], v188 offset:8448
	;; [unrolled: 1-line block ×6, first 2 shown]
	v_cmp_gt_u32_e32 vcc, 33, v58
                                        ; implicit-def: $vgpr26_vgpr27
                                        ; implicit-def: $vgpr22_vgpr23
                                        ; implicit-def: $vgpr2_vgpr3
	s_and_saveexec_b64 s[4:5], vcc
	s_cbranch_execz .LBB0_25
; %bb.24:
	ds_read_b128 v[4:7], v188 offset:3696
	ds_read_b128 v[8:11], v188 offset:7920
	;; [unrolled: 1-line block ×7, first 2 shown]
.LBB0_25:
	s_or_b64 exec, exec, s[4:5]
	s_movk_i32 s4, 0xf9
	v_mul_lo_u16_sdwa v59, v58, s4 dst_sel:DWORD dst_unused:UNUSED_PAD src0_sel:BYTE_0 src1_sel:DWORD
	v_lshrrev_b16_e32 v59, 13, v59
	v_mul_lo_u16_e32 v64, 33, v59
	v_sub_u16_e32 v88, v58, v64
	v_mov_b32_e32 v64, 6
	v_mul_u32_u24_sdwa v64, v88, v64 dst_sel:DWORD dst_unused:UNUSED_PAD src0_sel:BYTE_0 src1_sel:DWORD
	v_lshlrev_b32_e32 v89, 4, v64
	global_load_dwordx4 v[64:67], v89, s[8:9] offset:480
	global_load_dwordx4 v[68:71], v89, s[8:9] offset:496
	global_load_dwordx4 v[72:75], v89, s[8:9] offset:512
	global_load_dwordx4 v[76:79], v89, s[8:9] offset:528
	global_load_dwordx4 v[80:83], v89, s[8:9] offset:560
	global_load_dwordx4 v[84:87], v89, s[8:9] offset:544
	v_mov_b32_e32 v89, 4
	v_mul_u32_u24_e32 v59, 0xe70, v59
	v_lshlrev_b32_sdwa v88, v89, v88 dst_sel:DWORD dst_unused:UNUSED_PAD src0_sel:DWORD src1_sel:BYTE_0
	v_add3_u32 v59, 0, v59, v88
	s_mov_b32 s10, 0x37e14327
	s_mov_b32 s12, 0x36b3c0b5
	;; [unrolled: 1-line block ×20, first 2 shown]
	s_waitcnt vmcnt(0) lgkmcnt(0)
	s_barrier
	v_mul_f64 v[88:89], v[50:51], v[66:67]
	v_mul_f64 v[66:67], v[48:49], v[66:67]
	;; [unrolled: 1-line block ×12, first 2 shown]
	v_fma_f64 v[48:49], v[48:49], v[64:65], -v[88:89]
	v_fma_f64 v[50:51], v[50:51], v[64:65], v[66:67]
	v_fma_f64 v[44:45], v[44:45], v[68:69], -v[90:91]
	v_fma_f64 v[46:47], v[46:47], v[68:69], v[70:71]
	;; [unrolled: 2-line block ×6, first 2 shown]
	v_add_f64 v[64:65], v[48:49], v[52:53]
	v_add_f64 v[66:67], v[50:51], v[54:55]
	v_add_f64 v[48:49], v[48:49], -v[52:53]
	v_add_f64 v[50:51], v[50:51], -v[54:55]
	v_add_f64 v[52:53], v[44:45], v[40:41]
	v_add_f64 v[54:55], v[46:47], v[42:43]
	v_add_f64 v[40:41], v[44:45], -v[40:41]
	v_add_f64 v[42:43], v[46:47], -v[42:43]
	;; [unrolled: 4-line block ×4, first 2 shown]
	v_add_f64 v[64:65], v[64:65], -v[44:45]
	v_add_f64 v[66:67], v[66:67], -v[46:47]
	v_add_f64 v[52:53], v[44:45], -v[52:53]
	v_add_f64 v[54:55], v[46:47], -v[54:55]
	v_add_f64 v[72:73], v[32:33], v[40:41]
	v_add_f64 v[74:75], v[34:35], v[42:43]
	v_add_f64 v[76:77], v[32:33], -v[40:41]
	v_add_f64 v[78:79], v[34:35], -v[42:43]
	v_add_f64 v[36:37], v[44:45], v[36:37]
	v_add_f64 v[38:39], v[46:47], v[38:39]
	v_add_f64 v[40:41], v[40:41], -v[48:49]
	v_add_f64 v[42:43], v[42:43], -v[50:51]
	;; [unrolled: 1-line block ×4, first 2 shown]
	v_add_f64 v[44:45], v[72:73], v[48:49]
	v_add_f64 v[46:47], v[74:75], v[50:51]
	v_mul_f64 v[48:49], v[64:65], s[10:11]
	v_mul_f64 v[50:51], v[66:67], s[10:11]
	;; [unrolled: 1-line block ×6, first 2 shown]
	v_add_f64 v[28:29], v[28:29], v[36:37]
	v_add_f64 v[30:31], v[30:31], v[38:39]
	v_mul_f64 v[76:77], v[40:41], s[4:5]
	v_mul_f64 v[78:79], v[42:43], s[4:5]
	v_fma_f64 v[52:53], v[52:53], s[12:13], v[48:49]
	v_fma_f64 v[54:55], v[54:55], s[12:13], v[50:51]
	v_fma_f64 v[64:65], v[68:69], s[14:15], -v[64:65]
	v_fma_f64 v[66:67], v[70:71], s[14:15], -v[66:67]
	;; [unrolled: 1-line block ×4, first 2 shown]
	v_fma_f64 v[68:69], v[32:33], s[22:23], v[72:73]
	v_fma_f64 v[70:71], v[34:35], s[22:23], v[74:75]
	;; [unrolled: 1-line block ×4, first 2 shown]
	v_fma_f64 v[32:33], v[32:33], s[24:25], -v[76:77]
	v_fma_f64 v[34:35], v[34:35], s[24:25], -v[78:79]
	;; [unrolled: 1-line block ×4, first 2 shown]
	v_fma_f64 v[68:69], v[44:45], s[18:19], v[68:69]
	v_fma_f64 v[70:71], v[46:47], s[18:19], v[70:71]
	v_add_f64 v[52:53], v[52:53], v[36:37]
	v_add_f64 v[54:55], v[54:55], v[38:39]
	v_fma_f64 v[76:77], v[44:45], s[18:19], v[32:33]
	v_fma_f64 v[78:79], v[46:47], s[18:19], v[34:35]
	v_add_f64 v[48:49], v[48:49], v[36:37]
	v_add_f64 v[50:51], v[50:51], v[38:39]
	;; [unrolled: 4-line block ×3, first 2 shown]
	v_add_f64 v[32:33], v[70:71], v[52:53]
	v_add_f64 v[34:35], v[54:55], -v[68:69]
	v_add_f64 v[36:37], v[78:79], v[48:49]
	v_add_f64 v[38:39], v[50:51], -v[76:77]
	v_add_f64 v[48:49], v[48:49], -v[78:79]
	v_add_f64 v[50:51], v[76:77], v[50:51]
	v_add_f64 v[40:41], v[44:45], -v[74:75]
	v_add_f64 v[42:43], v[72:73], v[46:47]
	v_add_f64 v[44:45], v[74:75], v[44:45]
	v_add_f64 v[46:47], v[46:47], -v[72:73]
	v_add_f64 v[52:53], v[52:53], -v[70:71]
	v_add_f64 v[54:55], v[68:69], v[54:55]
	ds_write_b128 v59, v[28:31]
	ds_write_b128 v59, v[32:35] offset:528
	ds_write_b128 v59, v[36:39] offset:1056
	ds_write_b128 v59, v[40:43] offset:1584
	ds_write_b128 v59, v[44:47] offset:2112
	ds_write_b128 v59, v[48:51] offset:2640
	ds_write_b128 v59, v[52:55] offset:3168
	s_and_saveexec_b64 s[26:27], vcc
	s_cbranch_execz .LBB0_27
; %bb.26:
	v_add_u32_e32 v28, 0xe7, v58
	s_mov_b32 s28, 0xf83f
	v_mul_u32_u24_sdwa v29, v28, s28 dst_sel:DWORD dst_unused:UNUSED_PAD src0_sel:WORD_0 src1_sel:DWORD
	v_lshrrev_b32_e32 v29, 21, v29
	v_mul_lo_u16_e32 v29, 33, v29
	v_sub_u16_e32 v59, v28, v29
	v_mul_u32_u24_e32 v28, 6, v59
	v_lshlrev_b32_e32 v52, 4, v28
	global_load_dwordx4 v[28:31], v52, s[8:9] offset:528
	global_load_dwordx4 v[32:35], v52, s[8:9] offset:512
	;; [unrolled: 1-line block ×6, first 2 shown]
	s_waitcnt vmcnt(5)
	v_mul_f64 v[52:53], v[2:3], v[30:31]
	s_waitcnt vmcnt(4)
	v_mul_f64 v[54:55], v[18:19], v[34:35]
	s_waitcnt vmcnt(3)
	v_mul_f64 v[64:65], v[14:15], v[38:39]
	s_waitcnt vmcnt(2)
	v_mul_f64 v[66:67], v[22:23], v[42:43]
	s_waitcnt vmcnt(1)
	v_mul_f64 v[68:69], v[10:11], v[46:47]
	s_waitcnt vmcnt(0)
	v_mul_f64 v[70:71], v[26:27], v[50:51]
	v_mul_f64 v[38:39], v[12:13], v[38:39]
	v_mul_f64 v[42:43], v[20:21], v[42:43]
	;; [unrolled: 1-line block ×6, first 2 shown]
	v_fma_f64 v[12:13], v[12:13], v[36:37], -v[64:65]
	v_fma_f64 v[20:21], v[20:21], v[40:41], -v[66:67]
	;; [unrolled: 1-line block ×4, first 2 shown]
	v_fma_f64 v[14:15], v[14:15], v[36:37], v[38:39]
	v_fma_f64 v[22:23], v[22:23], v[40:41], v[42:43]
	;; [unrolled: 1-line block ×4, first 2 shown]
	v_fma_f64 v[0:1], v[0:1], v[28:29], -v[52:53]
	v_fma_f64 v[16:17], v[16:17], v[32:33], -v[54:55]
	v_fma_f64 v[18:19], v[18:19], v[32:33], v[34:35]
	v_fma_f64 v[2:3], v[2:3], v[28:29], v[30:31]
	v_add_f64 v[30:31], v[12:13], -v[20:21]
	v_add_f64 v[32:33], v[8:9], -v[24:25]
	v_add_f64 v[36:37], v[14:15], v[22:23]
	v_add_f64 v[38:39], v[10:11], v[26:27]
	;; [unrolled: 1-line block ×4, first 2 shown]
	v_add_f64 v[28:29], v[0:1], -v[16:17]
	v_add_f64 v[34:35], v[18:19], v[2:3]
	v_add_f64 v[0:1], v[16:17], v[0:1]
	v_add_f64 v[2:3], v[2:3], -v[18:19]
	v_add_f64 v[14:15], v[14:15], -v[22:23]
	;; [unrolled: 1-line block ×3, first 2 shown]
	v_add_f64 v[26:27], v[36:37], v[38:39]
	v_add_f64 v[42:43], v[12:13], v[8:9]
	;; [unrolled: 1-line block ×3, first 2 shown]
	v_add_f64 v[18:19], v[28:29], -v[30:31]
	v_add_f64 v[20:21], v[32:33], -v[28:29]
	v_add_f64 v[22:23], v[34:35], -v[36:37]
	v_add_f64 v[24:25], v[38:39], -v[34:35]
	v_add_f64 v[28:29], v[0:1], -v[12:13]
	v_add_f64 v[40:41], v[8:9], -v[0:1]
	v_add_f64 v[46:47], v[2:3], -v[14:15]
	v_add_f64 v[36:37], v[36:37], -v[38:39]
	v_add_f64 v[26:27], v[34:35], v[26:27]
	v_add_f64 v[38:39], v[0:1], v[42:43]
	;; [unrolled: 1-line block ×3, first 2 shown]
	v_add_f64 v[30:31], v[30:31], -v[32:33]
	v_add_f64 v[8:9], v[12:13], -v[8:9]
	;; [unrolled: 1-line block ×4, first 2 shown]
	v_add_f64 v[14:15], v[16:17], v[32:33]
	v_mul_f64 v[16:17], v[18:19], s[16:17]
	v_mul_f64 v[24:25], v[24:25], s[10:11]
	;; [unrolled: 1-line block ×5, first 2 shown]
	v_add_f64 v[2:3], v[6:7], v[26:27]
	v_add_f64 v[0:1], v[4:5], v[38:39]
	;; [unrolled: 1-line block ×3, first 2 shown]
	v_mul_f64 v[42:43], v[30:31], s[4:5]
	v_mul_f64 v[44:45], v[12:13], s[4:5]
	;; [unrolled: 1-line block ×3, first 2 shown]
	v_fma_f64 v[46:47], v[20:21], s[22:23], v[16:17]
	v_fma_f64 v[22:23], v[22:23], s[12:13], v[24:25]
	;; [unrolled: 1-line block ×4, first 2 shown]
	v_fma_f64 v[28:29], v[8:9], s[20:21], -v[34:35]
	v_fma_f64 v[26:27], v[26:27], s[6:7], v[2:3]
	v_fma_f64 v[8:9], v[8:9], s[14:15], -v[32:33]
	v_fma_f64 v[32:33], v[38:39], s[6:7], v[0:1]
	v_fma_f64 v[20:21], v[20:21], s[24:25], -v[42:43]
	v_fma_f64 v[24:25], v[36:37], s[20:21], -v[24:25]
	;; [unrolled: 1-line block ×6, first 2 shown]
	v_fma_f64 v[30:31], v[14:15], s[18:19], v[46:47]
	v_fma_f64 v[4:5], v[10:11], s[18:19], v[4:5]
	v_add_f64 v[36:37], v[22:23], v[26:27]
	v_add_f64 v[38:39], v[6:7], v[32:33]
	v_fma_f64 v[20:21], v[14:15], s[18:19], v[20:21]
	v_add_f64 v[22:23], v[24:25], v[26:27]
	v_fma_f64 v[34:35], v[10:11], s[18:19], v[34:35]
	;; [unrolled: 2-line block ×4, first 2 shown]
	v_add_f64 v[8:9], v[8:9], v[32:33]
	v_add_f64 v[26:27], v[36:37], -v[30:31]
	v_add_f64 v[24:25], v[4:5], v[38:39]
	v_add_f64 v[10:11], v[20:21], v[22:23]
	v_add_f64 v[22:23], v[22:23], -v[20:21]
	v_add_f64 v[20:21], v[34:35], v[28:29]
	v_add_f64 v[14:15], v[18:19], -v[16:17]
	;; [unrolled: 2-line block ×5, first 2 shown]
	v_lshl_add_u32 v28, v59, 4, 0
	ds_write_b128 v28, v[0:3] offset:25872
	ds_write_b128 v28, v[24:27] offset:26400
	;; [unrolled: 1-line block ×7, first 2 shown]
.LBB0_27:
	s_or_b64 exec, exec, s[26:27]
	v_mul_u32_u24_e32 v0, 3, v58
	v_lshlrev_b32_e32 v12, 4, v0
	s_waitcnt lgkmcnt(0)
	s_barrier
	global_load_dwordx4 v[0:3], v12, s[8:9] offset:3648
	global_load_dwordx4 v[4:7], v12, s[8:9] offset:3664
	;; [unrolled: 1-line block ×3, first 2 shown]
	ds_read_b128 v[12:15], v188
	ds_read_b128 v[16:19], v188 offset:3696
	ds_read_b128 v[20:23], v188 offset:7392
	;; [unrolled: 1-line block ×7, first 2 shown]
	v_mov_b32_e32 v44, s9
	v_add_co_u32_e32 v45, vcc, s8, v60
	v_addc_co_u32_e32 v46, vcc, v44, v61, vcc
	v_add_co_u32_e32 v71, vcc, s8, v62
	v_addc_co_u32_e32 v72, vcc, v44, v63, vcc
	s_movk_i32 s4, 0x3000
	v_add_co_u32_e32 v44, vcc, s4, v45
	s_movk_i32 s5, 0x4000
	v_addc_co_u32_e32 v45, vcc, 0, v46, vcc
	v_add_co_u32_e32 v46, vcc, s5, v71
	s_movk_i32 s6, 0x5000
	v_addc_co_u32_e32 v47, vcc, 0, v72, vcc
	;; [unrolled: 3-line block ×3, first 2 shown]
	s_waitcnt vmcnt(0) lgkmcnt(0)
	s_barrier
	v_mul_f64 v[50:51], v[22:23], v[2:3]
	v_mul_f64 v[52:53], v[20:21], v[2:3]
	;; [unrolled: 1-line block ×12, first 2 shown]
	v_fma_f64 v[20:21], v[20:21], v[0:1], -v[50:51]
	v_fma_f64 v[22:23], v[22:23], v[0:1], v[52:53]
	v_fma_f64 v[28:29], v[28:29], v[4:5], -v[54:55]
	v_fma_f64 v[30:31], v[30:31], v[4:5], v[59:60]
	;; [unrolled: 2-line block ×6, first 2 shown]
	v_add_f64 v[26:27], v[12:13], -v[28:29]
	v_add_f64 v[28:29], v[14:15], -v[30:31]
	;; [unrolled: 1-line block ×8, first 2 shown]
	v_fma_f64 v[36:37], v[12:13], 2.0, -v[26:27]
	v_fma_f64 v[38:39], v[14:15], 2.0, -v[28:29]
	;; [unrolled: 1-line block ×8, first 2 shown]
	v_add_f64 v[0:1], v[26:27], -v[30:31]
	v_add_f64 v[2:3], v[28:29], v[10:11]
	v_add_f64 v[4:5], v[32:33], -v[4:5]
	v_add_f64 v[6:7], v[34:35], v[6:7]
	v_add_f64 v[8:9], v[36:37], -v[8:9]
	v_add_f64 v[10:11], v[38:39], -v[12:13]
	;; [unrolled: 1-line block ×4, first 2 shown]
	v_fma_f64 v[16:17], v[26:27], 2.0, -v[0:1]
	v_fma_f64 v[18:19], v[28:29], 2.0, -v[2:3]
	;; [unrolled: 1-line block ×8, first 2 shown]
	ds_write_b128 v188, v[0:3] offset:11088
	ds_write_b128 v188, v[4:7] offset:25872
	;; [unrolled: 1-line block ×6, first 2 shown]
	ds_write_b128 v188, v[24:27]
	ds_write_b128 v188, v[28:31] offset:14784
	v_add_co_u32_e32 v12, vcc, s7, v71
	s_waitcnt lgkmcnt(0)
	s_barrier
	global_load_dwordx4 v[0:3], v[44:45], off offset:2448
	global_load_dwordx4 v[4:7], v[46:47], off offset:2048
	;; [unrolled: 1-line block ×3, first 2 shown]
	v_addc_co_u32_e32 v13, vcc, 0, v72, vcc
	global_load_dwordx4 v[12:15], v[12:13], off offset:1248
	ds_read_b128 v[16:19], v188
	ds_read_b128 v[20:23], v188 offset:3696
	ds_read_b128 v[24:27], v188 offset:14784
	;; [unrolled: 1-line block ×7, first 2 shown]
	s_waitcnt vmcnt(0) lgkmcnt(0)
	s_barrier
	v_mul_f64 v[48:49], v[26:27], v[2:3]
	v_mul_f64 v[2:3], v[24:25], v[2:3]
	v_mul_f64 v[50:51], v[30:31], v[6:7]
	v_mul_f64 v[6:7], v[28:29], v[6:7]
	v_mul_f64 v[52:53], v[42:43], v[10:11]
	v_mul_f64 v[10:11], v[40:41], v[10:11]
	v_mul_f64 v[54:55], v[46:47], v[14:15]
	v_mul_f64 v[14:15], v[44:45], v[14:15]
	v_fma_f64 v[24:25], v[24:25], v[0:1], -v[48:49]
	v_fma_f64 v[2:3], v[26:27], v[0:1], v[2:3]
	v_fma_f64 v[26:27], v[28:29], v[4:5], -v[50:51]
	v_fma_f64 v[6:7], v[30:31], v[4:5], v[6:7]
	;; [unrolled: 2-line block ×4, first 2 shown]
	v_add_f64 v[0:1], v[16:17], -v[24:25]
	v_add_f64 v[2:3], v[18:19], -v[2:3]
	;; [unrolled: 1-line block ×8, first 2 shown]
	v_fma_f64 v[16:17], v[16:17], 2.0, -v[0:1]
	v_fma_f64 v[18:19], v[18:19], 2.0, -v[2:3]
	;; [unrolled: 1-line block ×8, first 2 shown]
	ds_write_b128 v188, v[0:3] offset:14784
	ds_write_b128 v188, v[4:7] offset:18480
	;; [unrolled: 1-line block ×4, first 2 shown]
	ds_write_b128 v188, v[16:19]
	ds_write_b128 v188, v[20:23] offset:3696
	ds_write_b128 v188, v[24:27] offset:7392
	;; [unrolled: 1-line block ×3, first 2 shown]
	s_waitcnt lgkmcnt(0)
	s_barrier
	s_and_saveexec_b64 s[4:5], s[0:1]
	s_cbranch_execz .LBB0_29
; %bb.28:
	v_lshl_add_u32 v10, v58, 4, 0
	v_mov_b32_e32 v59, 0
	ds_read_b128 v[0:3], v10
	v_mov_b32_e32 v4, s3
	v_add_co_u32_e32 v11, vcc, s2, v56
	v_addc_co_u32_e32 v12, vcc, v4, v57, vcc
	v_lshlrev_b64 v[4:5], 4, v[58:59]
	v_add_co_u32_e32 v8, vcc, v11, v4
	v_addc_co_u32_e32 v9, vcc, v12, v5, vcc
	ds_read_b128 v[4:7], v10 offset:3696
	s_waitcnt lgkmcnt(1)
	global_store_dwordx4 v[8:9], v[0:3], off
	s_nop 0
	v_add_u32_e32 v0, 0xe7, v58
	v_mov_b32_e32 v1, v59
	v_lshlrev_b64 v[0:1], 4, v[0:1]
	v_add_co_u32_e32 v0, vcc, v11, v0
	v_addc_co_u32_e32 v1, vcc, v12, v1, vcc
	s_waitcnt lgkmcnt(0)
	global_store_dwordx4 v[0:1], v[4:7], off
	ds_read_b128 v[0:3], v10 offset:7392
	v_add_u32_e32 v4, 0x1ce, v58
	v_mov_b32_e32 v5, v59
	v_lshlrev_b64 v[4:5], 4, v[4:5]
	v_add_co_u32_e32 v8, vcc, v11, v4
	v_addc_co_u32_e32 v9, vcc, v12, v5, vcc
	ds_read_b128 v[4:7], v10 offset:11088
	s_waitcnt lgkmcnt(1)
	global_store_dwordx4 v[8:9], v[0:3], off
	s_nop 0
	v_add_u32_e32 v0, 0x2b5, v58
	v_mov_b32_e32 v1, v59
	v_lshlrev_b64 v[0:1], 4, v[0:1]
	v_add_co_u32_e32 v0, vcc, v11, v0
	v_addc_co_u32_e32 v1, vcc, v12, v1, vcc
	s_waitcnt lgkmcnt(0)
	global_store_dwordx4 v[0:1], v[4:7], off
	ds_read_b128 v[0:3], v10 offset:14784
	v_add_u32_e32 v4, 0x39c, v58
	v_mov_b32_e32 v5, v59
	;; [unrolled: 17-line block ×3, first 2 shown]
	v_lshlrev_b64 v[4:5], 4, v[4:5]
	v_add_u32_e32 v58, 0x651, v58
	v_add_co_u32_e32 v8, vcc, v11, v4
	v_addc_co_u32_e32 v9, vcc, v12, v5, vcc
	ds_read_b128 v[4:7], v10 offset:25872
	s_waitcnt lgkmcnt(1)
	global_store_dwordx4 v[8:9], v[0:3], off
	s_nop 0
	v_lshlrev_b64 v[0:1], 4, v[58:59]
	v_add_co_u32_e32 v0, vcc, v11, v0
	v_addc_co_u32_e32 v1, vcc, v12, v1, vcc
	s_waitcnt lgkmcnt(0)
	global_store_dwordx4 v[0:1], v[4:7], off
.LBB0_29:
	s_endpgm
	.section	.rodata,"a",@progbits
	.p2align	6, 0x0
	.amdhsa_kernel fft_rtc_fwd_len1848_factors_3_11_7_4_2_wgs_231_tpt_231_halfLds_dp_ip_CI_unitstride_sbrr_C2R_dirReg
		.amdhsa_group_segment_fixed_size 0
		.amdhsa_private_segment_fixed_size 0
		.amdhsa_kernarg_size 88
		.amdhsa_user_sgpr_count 6
		.amdhsa_user_sgpr_private_segment_buffer 1
		.amdhsa_user_sgpr_dispatch_ptr 0
		.amdhsa_user_sgpr_queue_ptr 0
		.amdhsa_user_sgpr_kernarg_segment_ptr 1
		.amdhsa_user_sgpr_dispatch_id 0
		.amdhsa_user_sgpr_flat_scratch_init 0
		.amdhsa_user_sgpr_private_segment_size 0
		.amdhsa_uses_dynamic_stack 0
		.amdhsa_system_sgpr_private_segment_wavefront_offset 0
		.amdhsa_system_sgpr_workgroup_id_x 1
		.amdhsa_system_sgpr_workgroup_id_y 0
		.amdhsa_system_sgpr_workgroup_id_z 0
		.amdhsa_system_sgpr_workgroup_info 0
		.amdhsa_system_vgpr_workitem_id 0
		.amdhsa_next_free_vgpr 252
		.amdhsa_next_free_sgpr 38
		.amdhsa_reserve_vcc 1
		.amdhsa_reserve_flat_scratch 0
		.amdhsa_float_round_mode_32 0
		.amdhsa_float_round_mode_16_64 0
		.amdhsa_float_denorm_mode_32 3
		.amdhsa_float_denorm_mode_16_64 3
		.amdhsa_dx10_clamp 1
		.amdhsa_ieee_mode 1
		.amdhsa_fp16_overflow 0
		.amdhsa_exception_fp_ieee_invalid_op 0
		.amdhsa_exception_fp_denorm_src 0
		.amdhsa_exception_fp_ieee_div_zero 0
		.amdhsa_exception_fp_ieee_overflow 0
		.amdhsa_exception_fp_ieee_underflow 0
		.amdhsa_exception_fp_ieee_inexact 0
		.amdhsa_exception_int_div_zero 0
	.end_amdhsa_kernel
	.text
.Lfunc_end0:
	.size	fft_rtc_fwd_len1848_factors_3_11_7_4_2_wgs_231_tpt_231_halfLds_dp_ip_CI_unitstride_sbrr_C2R_dirReg, .Lfunc_end0-fft_rtc_fwd_len1848_factors_3_11_7_4_2_wgs_231_tpt_231_halfLds_dp_ip_CI_unitstride_sbrr_C2R_dirReg
                                        ; -- End function
	.section	.AMDGPU.csdata,"",@progbits
; Kernel info:
; codeLenInByte = 10288
; NumSgprs: 42
; NumVgprs: 252
; ScratchSize: 0
; MemoryBound: 0
; FloatMode: 240
; IeeeMode: 1
; LDSByteSize: 0 bytes/workgroup (compile time only)
; SGPRBlocks: 5
; VGPRBlocks: 62
; NumSGPRsForWavesPerEU: 42
; NumVGPRsForWavesPerEU: 252
; Occupancy: 1
; WaveLimiterHint : 1
; COMPUTE_PGM_RSRC2:SCRATCH_EN: 0
; COMPUTE_PGM_RSRC2:USER_SGPR: 6
; COMPUTE_PGM_RSRC2:TRAP_HANDLER: 0
; COMPUTE_PGM_RSRC2:TGID_X_EN: 1
; COMPUTE_PGM_RSRC2:TGID_Y_EN: 0
; COMPUTE_PGM_RSRC2:TGID_Z_EN: 0
; COMPUTE_PGM_RSRC2:TIDIG_COMP_CNT: 0
	.type	__hip_cuid_54ee3ed03608eb7,@object ; @__hip_cuid_54ee3ed03608eb7
	.section	.bss,"aw",@nobits
	.globl	__hip_cuid_54ee3ed03608eb7
__hip_cuid_54ee3ed03608eb7:
	.byte	0                               ; 0x0
	.size	__hip_cuid_54ee3ed03608eb7, 1

	.ident	"AMD clang version 19.0.0git (https://github.com/RadeonOpenCompute/llvm-project roc-6.4.0 25133 c7fe45cf4b819c5991fe208aaa96edf142730f1d)"
	.section	".note.GNU-stack","",@progbits
	.addrsig
	.addrsig_sym __hip_cuid_54ee3ed03608eb7
	.amdgpu_metadata
---
amdhsa.kernels:
  - .args:
      - .actual_access:  read_only
        .address_space:  global
        .offset:         0
        .size:           8
        .value_kind:     global_buffer
      - .offset:         8
        .size:           8
        .value_kind:     by_value
      - .actual_access:  read_only
        .address_space:  global
        .offset:         16
        .size:           8
        .value_kind:     global_buffer
      - .actual_access:  read_only
        .address_space:  global
        .offset:         24
        .size:           8
        .value_kind:     global_buffer
      - .offset:         32
        .size:           8
        .value_kind:     by_value
      - .actual_access:  read_only
        .address_space:  global
        .offset:         40
        .size:           8
        .value_kind:     global_buffer
      - .actual_access:  read_only
        .address_space:  global
        .offset:         48
        .size:           8
        .value_kind:     global_buffer
      - .offset:         56
        .size:           4
        .value_kind:     by_value
      - .actual_access:  read_only
        .address_space:  global
        .offset:         64
        .size:           8
        .value_kind:     global_buffer
      - .actual_access:  read_only
        .address_space:  global
        .offset:         72
        .size:           8
        .value_kind:     global_buffer
      - .address_space:  global
        .offset:         80
        .size:           8
        .value_kind:     global_buffer
    .group_segment_fixed_size: 0
    .kernarg_segment_align: 8
    .kernarg_segment_size: 88
    .language:       OpenCL C
    .language_version:
      - 2
      - 0
    .max_flat_workgroup_size: 231
    .name:           fft_rtc_fwd_len1848_factors_3_11_7_4_2_wgs_231_tpt_231_halfLds_dp_ip_CI_unitstride_sbrr_C2R_dirReg
    .private_segment_fixed_size: 0
    .sgpr_count:     42
    .sgpr_spill_count: 0
    .symbol:         fft_rtc_fwd_len1848_factors_3_11_7_4_2_wgs_231_tpt_231_halfLds_dp_ip_CI_unitstride_sbrr_C2R_dirReg.kd
    .uniform_work_group_size: 1
    .uses_dynamic_stack: false
    .vgpr_count:     252
    .vgpr_spill_count: 0
    .wavefront_size: 64
amdhsa.target:   amdgcn-amd-amdhsa--gfx906
amdhsa.version:
  - 1
  - 2
...

	.end_amdgpu_metadata
